;; amdgpu-corpus repo=ROCm/rocFFT kind=compiled arch=gfx906 opt=O3
	.text
	.amdgcn_target "amdgcn-amd-amdhsa--gfx906"
	.amdhsa_code_object_version 6
	.protected	fft_rtc_fwd_len200_factors_2_4_5_5_wgs_320_tpt_20_dim3_sp_ip_CI_sbcc_twdbase8_2step_dirReg_intrinsicReadWrite ; -- Begin function fft_rtc_fwd_len200_factors_2_4_5_5_wgs_320_tpt_20_dim3_sp_ip_CI_sbcc_twdbase8_2step_dirReg_intrinsicReadWrite
	.globl	fft_rtc_fwd_len200_factors_2_4_5_5_wgs_320_tpt_20_dim3_sp_ip_CI_sbcc_twdbase8_2step_dirReg_intrinsicReadWrite
	.p2align	8
	.type	fft_rtc_fwd_len200_factors_2_4_5_5_wgs_320_tpt_20_dim3_sp_ip_CI_sbcc_twdbase8_2step_dirReg_intrinsicReadWrite,@function
fft_rtc_fwd_len200_factors_2_4_5_5_wgs_320_tpt_20_dim3_sp_ip_CI_sbcc_twdbase8_2step_dirReg_intrinsicReadWrite: ; @fft_rtc_fwd_len200_factors_2_4_5_5_wgs_320_tpt_20_dim3_sp_ip_CI_sbcc_twdbase8_2step_dirReg_intrinsicReadWrite
; %bb.0:
	s_load_dwordx4 s[0:3], s[4:5], 0x10
	s_mov_b32 s7, 0
	s_mov_b64 s[20:21], 0
	s_waitcnt lgkmcnt(0)
	s_load_dwordx2 s[10:11], s[0:1], 0x8
	s_waitcnt lgkmcnt(0)
	s_add_u32 s8, s10, -1
	s_addc_u32 s9, s11, -1
	s_lshr_b64 s[8:9], s[8:9], 4
	s_add_u32 s18, s8, 1
	s_addc_u32 s19, s9, 0
	v_mov_b32_e32 v1, s18
	v_mov_b32_e32 v2, s19
	v_cmp_lt_u64_e32 vcc, s[6:7], v[1:2]
	s_cbranch_vccnz .LBB0_2
; %bb.1:
	v_cvt_f32_u32_e32 v1, s18
	s_sub_i32 s8, 0, s18
	s_mov_b32 s21, s7
	v_rcp_iflag_f32_e32 v1, v1
	v_mul_f32_e32 v1, 0x4f7ffffe, v1
	v_cvt_u32_f32_e32 v1, v1
	v_readfirstlane_b32 s9, v1
	s_mul_i32 s8, s8, s9
	s_mul_hi_u32 s8, s9, s8
	s_add_i32 s9, s9, s8
	s_mul_hi_u32 s8, s6, s9
	s_mul_i32 s12, s8, s18
	s_sub_i32 s12, s6, s12
	s_add_i32 s9, s8, 1
	s_sub_i32 s13, s12, s18
	s_cmp_ge_u32 s12, s18
	s_cselect_b32 s8, s9, s8
	s_cselect_b32 s12, s13, s12
	s_add_i32 s9, s8, 1
	s_cmp_ge_u32 s12, s18
	s_cselect_b32 s20, s9, s8
.LBB0_2:
	s_load_dwordx2 s[22:23], s[0:1], 0x10
	s_load_dwordx2 s[8:9], s[4:5], 0x50
	s_load_dwordx4 s[12:15], s[2:3], 0x0
	s_mov_b64 s[0:1], s[20:21]
	s_waitcnt lgkmcnt(0)
	v_mov_b32_e32 v1, s22
	v_mov_b32_e32 v2, s23
	v_cmp_lt_u64_e32 vcc, s[20:21], v[1:2]
	s_cbranch_vccnz .LBB0_4
; %bb.3:
	v_cvt_f32_u32_e32 v1, s22
	s_sub_i32 s0, 0, s22
	v_rcp_iflag_f32_e32 v1, v1
	v_mul_f32_e32 v1, 0x4f7ffffe, v1
	v_cvt_u32_f32_e32 v1, v1
	v_readfirstlane_b32 s1, v1
	s_mul_i32 s0, s0, s1
	s_mul_hi_u32 s0, s1, s0
	s_add_i32 s1, s1, s0
	s_mul_hi_u32 s0, s20, s1
	s_mul_i32 s0, s0, s22
	s_sub_i32 s0, s20, s0
	s_sub_i32 s1, s0, s22
	s_cmp_ge_u32 s0, s22
	s_cselect_b32 s0, s1, s0
	s_sub_i32 s1, s0, s22
	s_cmp_ge_u32 s0, s22
	s_cselect_b32 s0, s1, s0
.LBB0_4:
	s_mul_i32 s1, s22, s19
	s_mul_hi_u32 s13, s22, s18
	s_add_i32 s1, s13, s1
	s_mul_i32 s13, s23, s18
	s_mul_i32 s24, s22, s18
	s_load_dwordx2 s[16:17], s[4:5], 0x0
	s_add_i32 s25, s1, s13
	s_load_dwordx2 s[22:23], s[2:3], 0x10
	v_mov_b32_e32 v1, s24
	v_mov_b32_e32 v2, s25
	v_cmp_lt_u64_e32 vcc, s[6:7], v[1:2]
	s_mov_b64 s[26:27], 0
	s_cbranch_vccnz .LBB0_6
; %bb.5:
	v_cvt_f32_u32_e32 v1, s24
	s_sub_i32 s1, 0, s24
	v_rcp_iflag_f32_e32 v1, v1
	v_mul_f32_e32 v1, 0x4f7ffffe, v1
	v_cvt_u32_f32_e32 v1, v1
	v_readfirstlane_b32 s7, v1
	s_mul_i32 s1, s1, s7
	s_mul_hi_u32 s1, s7, s1
	s_add_i32 s7, s7, s1
	s_mul_hi_u32 s1, s6, s7
	s_mul_i32 s13, s1, s24
	s_sub_i32 s13, s6, s13
	s_add_i32 s7, s1, 1
	s_sub_i32 s15, s13, s24
	s_cmp_ge_u32 s13, s24
	s_cselect_b32 s1, s7, s1
	s_cselect_b32 s13, s15, s13
	s_add_i32 s7, s1, 1
	s_cmp_ge_u32 s13, s24
	s_cselect_b32 s26, s7, s1
.LBB0_6:
	s_mul_i32 s1, s20, s19
	s_mul_hi_u32 s7, s20, s18
	s_add_i32 s7, s7, s1
	s_mul_i32 s1, s20, s18
	s_sub_u32 s6, s6, s1
	s_load_dword s1, s[2:3], 0x18
	s_subb_u32 s7, 0, s7
	s_lshl_b64 s[2:3], s[6:7], 4
	s_mul_i32 s6, s14, s2
	s_waitcnt lgkmcnt(0)
	s_mul_i32 s0, s22, s0
	s_add_i32 s0, s0, s6
	s_mul_i32 s1, s1, s26
	s_add_i32 s6, s1, s0
	v_and_b32_e32 v1, 15, v0
	s_add_u32 s0, s2, 16
	v_lshrrev_b32_e32 v34, 4, v0
	v_or_b32_e32 v19, s2, v1
	v_mov_b32_e32 v20, s3
	s_addc_u32 s1, s3, 0
	v_mad_u64_u32 v[17:18], s[2:3], s14, v1, 0
	v_mul_lo_u32 v4, s12, v34
	v_mov_b32_e32 v2, s10
	v_mov_b32_e32 v3, s11
	v_add_u32_e32 v38, 40, v34
	v_cmp_le_u64_e32 vcc, s[0:1], v[2:3]
	v_add_lshl_u32 v2, v17, v4, 3
	v_mul_lo_u32 v3, s12, v38
	v_add_u32_e32 v4, 0x8c, v34
	v_mul_lo_u32 v4, s12, v4
	v_cmp_gt_u64_e64 s[0:1], s[10:11], v[19:20]
	v_add_lshl_u32 v3, v17, v3, 3
	s_or_b64 vcc, vcc, s[0:1]
	v_cndmask_b32_e32 v11, -1, v3, vcc
	v_add_lshl_u32 v3, v17, v4, 3
	v_add_u32_e32 v4, 60, v34
	v_mul_lo_u32 v4, s12, v4
	v_or_b32_e32 v5, 0xa0, v34
	v_mul_lo_u32 v5, s12, v5
	v_cndmask_b32_e32 v12, -1, v3, vcc
	v_add_lshl_u32 v3, v17, v4, 3
	s_lshl_b32 s6, s6, 3
	s_mov_b32 s11, 0x20000
	s_mov_b32 s10, -2
	v_cndmask_b32_e32 v13, -1, v3, vcc
	v_add_lshl_u32 v3, v17, v5, 3
	v_cndmask_b32_e32 v14, -1, v3, vcc
	buffer_load_dwordx2 v[3:4], v11, s[8:11], s6 offen
	buffer_load_dwordx2 v[5:6], v12, s[8:11], s6 offen
	;; [unrolled: 1-line block ×4, first 2 shown]
	v_add_u32_e32 v11, 0x64, v34
	v_add_u32_e32 v18, 20, v34
	v_mul_lo_u32 v11, s12, v11
	v_add_u32_e32 v12, 0x78, v34
	v_mul_lo_u32 v15, s12, v18
	v_mul_lo_u32 v16, s12, v12
	v_cndmask_b32_e32 v2, -1, v2, vcc
	v_add_lshl_u32 v11, v17, v11, 3
	v_cndmask_b32_e32 v20, -1, v11, vcc
	buffer_load_dwordx2 v[11:12], v2, s[8:11], s6 offen
	buffer_load_dwordx2 v[13:14], v20, s[8:11], s6 offen
	v_add_lshl_u32 v2, v17, v15, 3
	v_add_lshl_u32 v15, v17, v16, 3
	v_cndmask_b32_e32 v2, -1, v2, vcc
	v_cndmask_b32_e32 v22, -1, v15, vcc
	v_add_u32_e32 v39, 0x50, v34
	buffer_load_dwordx2 v[15:16], v2, s[8:11], s6 offen
	buffer_load_dwordx2 v[20:21], v22, s[8:11], s6 offen
	v_mul_lo_u32 v2, s12, v39
	v_add_u32_e32 v22, 0xb4, v34
	v_mul_lo_u32 v22, s12, v22
	v_lshlrev_b32_e32 v35, 3, v1
	v_add_lshl_u32 v2, v17, v2, 3
	v_cndmask_b32_e32 v2, -1, v2, vcc
	v_add_lshl_u32 v22, v17, v22, 3
	v_cndmask_b32_e32 v26, -1, v22, vcc
	buffer_load_dwordx2 v[24:25], v2, s[8:11], s6 offen
	buffer_load_dwordx2 v[22:23], v26, s[8:11], s6 offen
	v_lshlrev_b32_e32 v26, 8, v34
	v_lshl_add_u32 v2, v38, 8, 0
	v_add3_u32 v26, 0, v26, v35
	v_add_u32_e32 v27, v2, v35
	v_add_u32_e32 v28, 0x3800, v26
	s_movk_i32 s0, 0xa0
	v_cmp_gt_u32_e64 s[0:1], s0, v0
	v_lshlrev_b32_e32 v40, 7, v38
	s_waitcnt vmcnt(8)
	v_sub_f32_e32 v5, v3, v5
	v_sub_f32_e32 v6, v4, v6
	s_waitcnt vmcnt(6)
	v_sub_f32_e32 v9, v7, v9
	v_sub_f32_e32 v10, v8, v10
	v_fma_f32 v3, v3, 2.0, -v5
	v_fma_f32 v4, v4, 2.0, -v6
	;; [unrolled: 1-line block ×4, first 2 shown]
	s_waitcnt vmcnt(4)
	v_sub_f32_e32 v13, v11, v13
	v_sub_f32_e32 v14, v12, v14
	v_fma_f32 v11, v11, 2.0, -v13
	v_fma_f32 v12, v12, 2.0, -v14
	ds_write2_b64 v27, v[3:4], v[5:6] offset1:16
	ds_write2_b64 v28, v[7:8], v[9:10] offset0:128 offset1:144
	ds_write2_b64 v26, v[11:12], v[13:14] offset1:16
	v_lshlrev_b32_e32 v7, 8, v18
	s_waitcnt vmcnt(2)
	v_sub_f32_e32 v3, v15, v20
	v_sub_f32_e32 v4, v16, v21
	v_fma_f32 v5, v15, 2.0, -v3
	v_fma_f32 v6, v16, 2.0, -v4
	v_add3_u32 v7, 0, v7, v35
	ds_write2_b64 v7, v[5:6], v[3:4] offset1:16
	v_lshlrev_b32_e32 v3, 8, v39
	v_add3_u32 v3, 0, v3, v35
	v_lshlrev_b32_e32 v4, 7, v18
	s_waitcnt vmcnt(0)
	v_sub_f32_e32 v22, v24, v22
	v_sub_f32_e32 v23, v25, v23
	v_fma_f32 v20, v24, 2.0, -v22
	v_fma_f32 v21, v25, 2.0, -v23
	ds_write2_b64 v3, v[20:21], v[22:23] offset1:16
	v_lshlrev_b32_e32 v3, 7, v34
	v_sub_u32_e32 v36, v26, v3
	s_waitcnt lgkmcnt(0)
	s_barrier
	v_add_u32_e32 v3, 0x100, v36
	v_sub_u32_e32 v37, v7, v4
	ds_read_b64 v[32:33], v36
	ds_read_b64 v[30:31], v37
	ds_read2st64_b64 v[13:16], v3 offset0:12 offset1:17
	ds_read2st64_b64 v[5:8], v3 offset0:37 offset1:42
	;; [unrolled: 1-line block ×3, first 2 shown]
                                        ; implicit-def: $vgpr25
                                        ; implicit-def: $vgpr27
	s_and_saveexec_b64 s[2:3], s[0:1]
	s_cbranch_execz .LBB0_8
; %bb.7:
	v_sub_u32_e32 v2, v2, v40
	v_lshl_add_u32 v1, v1, 3, v2
	ds_read_b64 v[22:23], v36 offset:11520
	ds_read_b64 v[26:27], v36 offset:17920
	ds_read_b64 v[20:21], v1
	ds_read_b64 v[24:25], v36 offset:24320
.LBB0_8:
	s_or_b64 exec, exec, s[2:3]
	v_bfe_u32 v41, v0, 4, 1
	v_mul_u32_u24_e32 v1, 3, v41
	v_lshlrev_b32_e32 v42, 3, v1
	global_load_dwordx4 v[1:4], v42, s[16:17]
	global_load_dwordx2 v[28:29], v42, s[16:17] offset:16
	v_lshlrev_b32_e32 v42, 2, v34
	s_movk_i32 s7, 0xf8
	s_movk_i32 s2, 0x1f8
	s_waitcnt vmcnt(0) lgkmcnt(0)
	s_barrier
	v_mul_f32_e32 v44, v2, v13
	v_mul_f32_e32 v45, v2, v16
	;; [unrolled: 1-line block ×4, first 2 shown]
	v_fmac_f32_e32 v44, v1, v14
	v_fma_f32 v14, v1, v15, -v45
	v_mul_f32_e32 v15, v4, v10
	v_mul_f32_e32 v45, v4, v11
	v_fma_f32 v13, v1, v13, -v43
	v_fmac_f32_e32 v46, v1, v16
	v_mul_f32_e32 v16, v4, v9
	v_mul_f32_e32 v43, v4, v12
	v_fma_f32 v9, v3, v9, -v15
	v_fmac_f32_e32 v45, v3, v12
	v_mul_f32_e32 v12, v29, v5
	v_mul_f32_e32 v15, v29, v8
	v_fmac_f32_e32 v16, v3, v10
	v_fma_f32 v10, v3, v11, -v43
	v_mul_f32_e32 v11, v29, v6
	v_mul_f32_e32 v43, v29, v7
	v_fmac_f32_e32 v12, v28, v6
	v_fma_f32 v6, v28, v7, -v15
	v_lshlrev_b32_e32 v7, 2, v18
	v_fmac_f32_e32 v43, v28, v8
	v_and_or_b32 v8, v42, s7, v41
	v_and_or_b32 v7, v7, s2, v41
	v_fma_f32 v5, v28, v5, -v11
	v_lshlrev_b32_e32 v8, 7, v8
	v_lshlrev_b32_e32 v7, 7, v7
	v_add3_u32 v42, 0, v8, v35
	v_add3_u32 v47, 0, v7, v35
	v_sub_f32_e32 v11, v32, v9
	v_sub_f32_e32 v15, v33, v16
	;; [unrolled: 1-line block ×8, first 2 shown]
	v_fma_f32 v32, v32, 2.0, -v11
	v_fma_f32 v33, v33, 2.0, -v15
	;; [unrolled: 1-line block ×8, first 2 shown]
	v_sub_f32_e32 v5, v11, v5
	v_add_f32_e32 v6, v15, v7
	v_sub_f32_e32 v7, v16, v9
	v_add_f32_e32 v8, v45, v8
	v_sub_f32_e32 v9, v32, v10
	v_sub_f32_e32 v10, v33, v12
	;; [unrolled: 1-line block ×4, first 2 shown]
	v_fma_f32 v11, v11, 2.0, -v5
	v_fma_f32 v12, v15, 2.0, -v6
	;; [unrolled: 1-line block ×8, first 2 shown]
	ds_write2_b64 v42, v[9:10], v[5:6] offset0:64 offset1:96
	ds_write2_b64 v42, v[30:31], v[11:12] offset1:32
	ds_write2_b64 v47, v[32:33], v[15:16] offset1:32
	ds_write2_b64 v47, v[13:14], v[7:8] offset0:64 offset1:96
	s_and_saveexec_b64 s[2:3], s[0:1]
	s_cbranch_execz .LBB0_10
; %bb.9:
	v_mul_f32_e32 v5, v26, v4
	v_fmac_f32_e32 v5, v27, v3
	v_sub_f32_e32 v8, v21, v5
	v_mul_f32_e32 v5, v23, v2
	v_fma_f32 v10, v22, v1, -v5
	v_mul_f32_e32 v5, v25, v29
	v_mul_f32_e32 v2, v22, v2
	v_fma_f32 v5, v24, v28, -v5
	v_mul_f32_e32 v4, v27, v4
	v_fmac_f32_e32 v2, v23, v1
	v_mul_f32_e32 v1, v24, v29
	v_sub_f32_e32 v11, v10, v5
	v_fma_f32 v3, v26, v3, -v4
	v_fmac_f32_e32 v1, v25, v28
	v_add_f32_e32 v5, v8, v11
	v_sub_f32_e32 v3, v20, v3
	v_sub_f32_e32 v1, v2, v1
	v_fma_f32 v7, v8, 2.0, -v5
	v_sub_f32_e32 v4, v3, v1
	v_fma_f32 v8, v21, 2.0, -v8
	v_fma_f32 v1, v2, 2.0, -v1
	;; [unrolled: 1-line block ×3, first 2 shown]
	v_sub_f32_e32 v2, v8, v1
	v_fma_f32 v3, v20, 2.0, -v3
	v_fma_f32 v1, v10, 2.0, -v11
	v_sub_f32_e32 v1, v3, v1
	v_fma_f32 v9, v8, 2.0, -v2
	v_fma_f32 v8, v3, 2.0, -v1
	v_lshlrev_b32_e32 v3, 2, v38
	v_and_or_b32 v3, v3, s7, v41
	v_lshlrev_b32_e32 v3, 7, v3
	v_add3_u32 v3, 0, v3, v35
	ds_write2_b64 v3, v[8:9], v[6:7] offset1:32
	ds_write2_b64 v3, v[1:2], v[4:5] offset0:64 offset1:96
.LBB0_10:
	s_or_b64 exec, exec, s[2:3]
	v_lshlrev_b32_e32 v5, 7, v39
	v_bfe_u32 v15, v0, 4, 3
	v_add3_u32 v13, 0, v40, v35
	v_add3_u32 v14, 0, v5, v35
	v_lshlrev_b32_e32 v9, 5, v15
	s_waitcnt lgkmcnt(0)
	s_barrier
	ds_read2st64_b64 v[1:4], v36 offset1:15
	ds_read_b64 v[7:8], v13
	ds_read_b64 v[20:21], v14
	ds_read2st64_b64 v[28:31], v36 offset0:25 offset1:30
	ds_read2st64_b64 v[38:41], v36 offset0:35 offset1:40
	ds_read_b64 v[5:6], v37
	ds_read_b64 v[48:49], v36 offset:23040
	global_load_dwordx4 v[42:45], v9, s[16:17] offset:64
	global_load_dwordx4 v[23:26], v9, s[16:17] offset:48
	v_and_b32_e32 v16, 7, v18
	s_movk_i32 s0, 0x280
	v_cmp_gt_u32_e64 s[0:1], s0, v0
	s_load_dwordx2 s[2:3], s[4:5], 0x8
	s_movk_i32 s4, 0xa0
	s_waitcnt vmcnt(0) lgkmcnt(0)
	v_mul_f32_e32 v9, v24, v8
	v_fma_f32 v10, v23, v7, -v9
	v_mul_f32_e32 v22, v24, v7
	v_mul_f32_e32 v7, v26, v21
	v_fma_f32 v12, v25, v20, -v7
	v_mul_f32_e32 v7, v43, v31
	v_fmac_f32_e32 v22, v23, v8
	v_mul_f32_e32 v23, v26, v20
	v_fma_f32 v32, v42, v30, -v7
	v_mul_f32_e32 v7, v45, v41
	v_fmac_f32_e32 v23, v25, v21
	v_mul_f32_e32 v24, v43, v30
	v_fma_f32 v33, v44, v40, -v7
	v_mul_f32_e32 v25, v45, v40
	v_lshlrev_b32_e32 v7, 5, v16
	v_fmac_f32_e32 v24, v42, v31
	v_fmac_f32_e32 v25, v44, v41
	global_load_dwordx4 v[40:43], v7, s[16:17] offset:64
	global_load_dwordx4 v[44:47], v7, s[16:17] offset:48
	v_sub_f32_e32 v8, v23, v24
	v_sub_f32_e32 v11, v10, v12
	s_waitcnt vmcnt(0)
	s_barrier
	v_mul_f32_e32 v7, v45, v4
	v_fma_f32 v21, v44, v3, -v7
	v_mul_f32_e32 v20, v45, v3
	v_mul_f32_e32 v3, v29, v47
	v_fma_f32 v27, v28, v46, -v3
	v_mul_f32_e32 v3, v39, v41
	v_fma_f32 v30, v38, v40, -v3
	;; [unrolled: 2-line block ×3, first 2 shown]
	v_add_f32_e32 v3, v1, v10
	v_add_f32_e32 v3, v3, v12
	;; [unrolled: 1-line block ×5, first 2 shown]
	v_fma_f32 v3, -0.5, v3, v1
	v_fmac_f32_e32 v20, v44, v4
	v_sub_f32_e32 v4, v22, v25
	v_mov_b32_e32 v9, v3
	v_mul_f32_e32 v26, v28, v47
	v_mul_f32_e32 v28, v38, v41
	v_fmac_f32_e32 v9, 0x3f737871, v4
	v_sub_f32_e32 v38, v33, v32
	v_fmac_f32_e32 v3, 0xbf737871, v4
	v_fmac_f32_e32 v9, 0x3f167918, v8
	v_add_f32_e32 v11, v11, v38
	v_fmac_f32_e32 v3, 0xbf167918, v8
	v_fmac_f32_e32 v9, 0x3e9e377a, v11
	v_fmac_f32_e32 v3, 0x3e9e377a, v11
	v_add_f32_e32 v11, v10, v33
	v_fma_f32 v1, -0.5, v11, v1
	v_mov_b32_e32 v11, v1
	v_fmac_f32_e32 v11, 0xbf737871, v8
	v_fmac_f32_e32 v1, 0x3f737871, v8
	v_fmac_f32_e32 v11, 0x3f167918, v4
	v_fmac_f32_e32 v1, 0xbf167918, v4
	v_add_f32_e32 v4, v2, v22
	v_add_f32_e32 v4, v4, v23
	;; [unrolled: 1-line block ×5, first 2 shown]
	v_fmac_f32_e32 v28, v39, v40
	v_sub_f32_e32 v38, v12, v10
	v_sub_f32_e32 v39, v32, v33
	v_fma_f32 v4, -0.5, v4, v2
	v_add_f32_e32 v38, v38, v39
	v_sub_f32_e32 v33, v10, v33
	v_mov_b32_e32 v10, v4
	v_fmac_f32_e32 v11, 0x3e9e377a, v38
	v_fmac_f32_e32 v1, 0x3e9e377a, v38
	;; [unrolled: 1-line block ×3, first 2 shown]
	v_sub_f32_e32 v32, v12, v32
	v_sub_f32_e32 v12, v22, v23
	;; [unrolled: 1-line block ×3, first 2 shown]
	v_fmac_f32_e32 v4, 0x3f737871, v33
	v_fmac_f32_e32 v10, 0xbf167918, v32
	v_add_f32_e32 v12, v12, v38
	v_fmac_f32_e32 v4, 0x3f167918, v32
	v_fmac_f32_e32 v10, 0x3e9e377a, v12
	;; [unrolled: 1-line block ×3, first 2 shown]
	v_add_f32_e32 v12, v22, v25
	v_sub_f32_e32 v22, v23, v22
	v_sub_f32_e32 v23, v24, v25
	v_fmac_f32_e32 v26, v29, v46
	v_mul_f32_e32 v29, v48, v43
	v_fma_f32 v2, -0.5, v12, v2
	v_add_f32_e32 v22, v22, v23
	v_add_f32_e32 v23, v27, v30
	v_fmac_f32_e32 v29, v49, v42
	v_mov_b32_e32 v12, v2
	v_fma_f32 v24, -0.5, v23, v5
	v_fmac_f32_e32 v12, 0x3f737871, v32
	v_fmac_f32_e32 v2, 0xbf737871, v32
	v_sub_f32_e32 v23, v20, v29
	v_mov_b32_e32 v32, v24
	v_fmac_f32_e32 v12, 0xbf167918, v33
	v_fmac_f32_e32 v2, 0x3f167918, v33
	;; [unrolled: 1-line block ×3, first 2 shown]
	v_sub_f32_e32 v25, v26, v28
	v_sub_f32_e32 v33, v21, v27
	;; [unrolled: 1-line block ×3, first 2 shown]
	v_fmac_f32_e32 v24, 0xbf737871, v23
	v_fmac_f32_e32 v32, 0x3f167918, v25
	v_add_f32_e32 v33, v33, v38
	v_fmac_f32_e32 v24, 0xbf167918, v25
	v_fmac_f32_e32 v32, 0x3e9e377a, v33
	;; [unrolled: 1-line block ×3, first 2 shown]
	v_add_f32_e32 v33, v21, v31
	v_fmac_f32_e32 v12, 0x3e9e377a, v22
	v_fmac_f32_e32 v2, 0x3e9e377a, v22
	v_add_f32_e32 v22, v5, v21
	v_fma_f32 v5, -0.5, v33, v5
	v_mov_b32_e32 v38, v5
	v_fmac_f32_e32 v38, 0xbf737871, v25
	v_sub_f32_e32 v33, v27, v21
	v_sub_f32_e32 v39, v30, v31
	v_fmac_f32_e32 v5, 0x3f737871, v25
	v_add_f32_e32 v25, v26, v28
	v_add_f32_e32 v22, v22, v27
	v_fmac_f32_e32 v38, 0x3f167918, v23
	v_add_f32_e32 v33, v33, v39
	v_fmac_f32_e32 v5, 0xbf167918, v23
	v_fma_f32 v25, -0.5, v25, v6
	v_add_f32_e32 v22, v22, v30
	v_fmac_f32_e32 v38, 0x3e9e377a, v33
	v_fmac_f32_e32 v5, 0x3e9e377a, v33
	v_sub_f32_e32 v21, v21, v31
	v_mov_b32_e32 v33, v25
	v_add_f32_e32 v22, v22, v31
	v_fmac_f32_e32 v33, 0xbf737871, v21
	v_sub_f32_e32 v27, v27, v30
	v_sub_f32_e32 v30, v20, v26
	;; [unrolled: 1-line block ×3, first 2 shown]
	v_fmac_f32_e32 v25, 0x3f737871, v21
	v_fmac_f32_e32 v33, 0xbf167918, v27
	v_add_f32_e32 v30, v30, v31
	v_fmac_f32_e32 v25, 0x3f167918, v27
	v_fmac_f32_e32 v33, 0x3e9e377a, v30
	;; [unrolled: 1-line block ×3, first 2 shown]
	v_add_f32_e32 v30, v20, v29
	v_add_f32_e32 v23, v6, v20
	v_fmac_f32_e32 v6, -0.5, v30
	v_mov_b32_e32 v39, v6
	v_add_f32_e32 v23, v23, v26
	v_fmac_f32_e32 v39, 0x3f737871, v27
	v_sub_f32_e32 v20, v26, v20
	v_sub_f32_e32 v26, v28, v29
	v_fmac_f32_e32 v6, 0xbf737871, v27
	v_fmac_f32_e32 v39, 0xbf167918, v21
	v_add_f32_e32 v20, v20, v26
	v_fmac_f32_e32 v6, 0x3f167918, v21
	v_fmac_f32_e32 v39, 0x3e9e377a, v20
	;; [unrolled: 1-line block ×3, first 2 shown]
	v_lshrrev_b32_e32 v20, 7, v0
	v_mul_u32_u24_e32 v20, 40, v20
	v_or_b32_e32 v15, v20, v15
	v_lshlrev_b32_e32 v15, 7, v15
	v_add3_u32 v15, 0, v15, v35
	ds_write2st64_b64 v15, v[7:8], v[9:10] offset1:2
	ds_write2st64_b64 v15, v[11:12], v[1:2] offset0:4 offset1:6
	ds_write_b64 v15, v[3:4] offset:4096
	v_lshrrev_b32_e32 v1, 3, v18
	v_mul_u32_u24_e32 v1, 40, v1
	v_or_b32_e32 v1, v1, v16
	v_add_f32_e32 v23, v23, v28
	v_lshlrev_b32_e32 v1, 7, v1
	v_add_f32_e32 v23, v23, v29
	v_add3_u32 v1, 0, v1, v35
	v_subrev_u32_e32 v7, 40, v34
	ds_write2st64_b64 v1, v[22:23], v[32:33] offset1:2
	ds_write2st64_b64 v1, v[38:39], v[5:6] offset0:4 offset1:6
	ds_write_b64 v1, v[24:25] offset:4096
	v_cndmask_b32_e64 v23, v7, v34, s[0:1]
	v_lshlrev_b32_e32 v24, 2, v23
	v_mov_b32_e32 v25, 0
	v_lshlrev_b64 v[24:25], 3, v[24:25]
	s_waitcnt lgkmcnt(0)
	s_barrier
	ds_read2st64_b64 v[8:11], v36 offset1:15
	ds_read_b64 v[20:21], v13
	ds_read_b64 v[32:33], v14
	ds_read2st64_b64 v[3:6], v36 offset0:25 offset1:30
	ds_read2st64_b64 v[12:15], v36 offset0:35 offset1:40
	ds_read_b64 v[1:2], v37
	ds_read_b64 v[35:36], v36 offset:23040
	v_add_co_u32_e64 v37, s[0:1], s16, v24
	v_mov_b32_e32 v7, s17
	v_addc_co_u32_e64 v38, s[0:1], v7, v25, s[0:1]
	global_load_dwordx4 v[24:27], v[37:38], off offset:320
	global_load_dwordx4 v[28:31], v[37:38], off offset:304
	s_movk_i32 s0, 0xcd
	s_waitcnt vmcnt(1) lgkmcnt(3)
	v_mul_f32_e32 v22, v25, v6
	s_waitcnt vmcnt(0)
	v_mul_f32_e32 v16, v29, v20
	v_mul_f32_e32 v7, v29, v21
	v_fmac_f32_e32 v16, v28, v21
	v_mul_f32_e32 v21, v31, v32
	v_fma_f32 v7, v28, v20, -v7
	v_mul_f32_e32 v20, v31, v33
	v_fmac_f32_e32 v21, v30, v33
	v_fma_f32 v33, v24, v5, -v22
	v_mul_f32_e32 v34, v25, v5
	s_waitcnt lgkmcnt(2)
	v_mul_f32_e32 v5, v27, v15
	v_fma_f32 v37, v26, v14, -v5
	v_mul_lo_u16_sdwa v5, v18, s0 dst_sel:DWORD dst_unused:UNUSED_PAD src0_sel:BYTE_0 src1_sel:DWORD
	v_lshrrev_b16_e32 v22, 13, v5
	v_mul_lo_u16_e32 v5, 40, v22
	v_sub_u16_e32 v5, v18, v5
	v_fmac_f32_e32 v34, v24, v6
	v_and_b32_e32 v24, 0xff, v5
	v_mul_f32_e32 v14, v27, v14
	v_lshlrev_b32_e32 v5, 5, v24
	v_fma_f32 v20, v30, v32, -v20
	v_fmac_f32_e32 v14, v26, v15
	global_load_dwordx4 v[25:28], v5, s[16:17] offset:320
	global_load_dwordx4 v[29:32], v5, s[16:17] offset:304
	v_sub_f32_e32 v15, v33, v37
	s_movk_i32 s0, 0x27f
	v_cmp_lt_u32_e64 s[0:1], s0, v0
	v_mov_b32_e32 v0, 0xc8
	v_cndmask_b32_e64 v0, 0, v0, s[0:1]
	v_add_u32_e32 v0, v23, v0
	s_waitcnt vmcnt(0)
	v_mul_f32_e32 v5, v30, v11
	v_fma_f32 v38, v29, v10, -v5
	v_mul_f32_e32 v30, v30, v10
	v_mul_f32_e32 v5, v4, v32
	v_fmac_f32_e32 v30, v29, v11
	v_fma_f32 v29, v3, v31, -v5
	v_mul_f32_e32 v3, v3, v32
	v_fmac_f32_e32 v3, v4, v31
	v_mul_f32_e32 v4, v13, v26
	v_add_f32_e32 v5, v20, v33
	v_fma_f32 v31, v12, v25, -v4
	v_mul_f32_e32 v32, v12, v26
	v_fma_f32 v12, -0.5, v5, v8
	v_sub_f32_e32 v5, v16, v14
	v_mov_b32_e32 v6, v12
	v_fmac_f32_e32 v32, v13, v25
	v_fmac_f32_e32 v6, 0x3f737871, v5
	v_sub_f32_e32 v11, v21, v34
	v_sub_f32_e32 v10, v7, v20
	v_sub_f32_e32 v13, v37, v33
	v_fmac_f32_e32 v12, 0xbf737871, v5
	v_fmac_f32_e32 v6, 0x3f167918, v11
	v_add_f32_e32 v10, v10, v13
	v_fmac_f32_e32 v12, 0xbf167918, v11
	v_fmac_f32_e32 v6, 0x3e9e377a, v10
	;; [unrolled: 1-line block ×3, first 2 shown]
	v_add_f32_e32 v10, v7, v37
	s_waitcnt lgkmcnt(0)
	v_mul_f32_e32 v4, v36, v28
	v_fma_f32 v10, -0.5, v10, v8
	v_fma_f32 v39, v35, v27, -v4
	v_add_f32_e32 v4, v8, v7
	v_mov_b32_e32 v8, v10
	v_fmac_f32_e32 v8, 0xbf737871, v11
	v_sub_f32_e32 v13, v20, v7
	v_fmac_f32_e32 v10, 0x3f737871, v11
	v_fmac_f32_e32 v8, 0x3f167918, v5
	v_add_f32_e32 v13, v13, v15
	v_fmac_f32_e32 v10, 0xbf167918, v5
	v_add_f32_e32 v11, v21, v34
	v_fmac_f32_e32 v8, 0x3e9e377a, v13
	v_fmac_f32_e32 v10, 0x3e9e377a, v13
	v_fma_f32 v13, -0.5, v11, v9
	v_sub_f32_e32 v15, v7, v37
	v_mov_b32_e32 v7, v13
	v_add_f32_e32 v4, v4, v20
	v_fmac_f32_e32 v7, 0xbf737871, v15
	v_sub_f32_e32 v20, v20, v33
	v_sub_f32_e32 v11, v16, v21
	;; [unrolled: 1-line block ×3, first 2 shown]
	v_fmac_f32_e32 v13, 0x3f737871, v15
	v_fmac_f32_e32 v7, 0xbf167918, v20
	v_add_f32_e32 v11, v11, v25
	v_fmac_f32_e32 v13, 0x3f167918, v20
	v_fmac_f32_e32 v7, 0x3e9e377a, v11
	;; [unrolled: 1-line block ×3, first 2 shown]
	v_add_f32_e32 v11, v16, v14
	v_fma_f32 v11, -0.5, v11, v9
	v_add_f32_e32 v5, v9, v16
	v_mov_b32_e32 v9, v11
	v_add_f32_e32 v5, v5, v21
	v_fmac_f32_e32 v9, 0x3f737871, v20
	v_fmac_f32_e32 v11, 0xbf737871, v20
	v_mul_f32_e32 v35, v35, v28
	v_add_f32_e32 v5, v5, v34
	v_fmac_f32_e32 v9, 0xbf167918, v15
	v_fmac_f32_e32 v11, 0x3f167918, v15
	v_add_f32_e32 v15, v29, v31
	v_fmac_f32_e32 v35, v36, v27
	v_add_f32_e32 v5, v5, v14
	v_sub_f32_e32 v16, v21, v16
	v_sub_f32_e32 v14, v34, v14
	v_fma_f32 v25, -0.5, v15, v1
	v_add_f32_e32 v14, v16, v14
	v_sub_f32_e32 v15, v30, v35
	v_mov_b32_e32 v16, v25
	v_fmac_f32_e32 v16, 0x3f737871, v15
	v_sub_f32_e32 v20, v3, v32
	v_sub_f32_e32 v21, v38, v29
	;; [unrolled: 1-line block ×3, first 2 shown]
	v_fmac_f32_e32 v25, 0xbf737871, v15
	v_fmac_f32_e32 v16, 0x3f167918, v20
	v_add_f32_e32 v21, v21, v26
	v_fmac_f32_e32 v25, 0xbf167918, v20
	v_fmac_f32_e32 v16, 0x3e9e377a, v21
	;; [unrolled: 1-line block ×3, first 2 shown]
	v_add_f32_e32 v21, v38, v39
	v_fma_f32 v26, -0.5, v21, v1
	v_mov_b32_e32 v21, v26
	v_fmac_f32_e32 v9, 0x3e9e377a, v14
	v_fmac_f32_e32 v11, 0x3e9e377a, v14
	v_add_f32_e32 v14, v1, v38
	v_fmac_f32_e32 v21, 0xbf737871, v20
	v_sub_f32_e32 v1, v29, v38
	v_sub_f32_e32 v27, v31, v39
	v_fmac_f32_e32 v26, 0x3f737871, v20
	v_fmac_f32_e32 v21, 0x3f167918, v15
	v_add_f32_e32 v1, v1, v27
	v_fmac_f32_e32 v26, 0xbf167918, v15
	v_fmac_f32_e32 v21, 0x3e9e377a, v1
	;; [unrolled: 1-line block ×3, first 2 shown]
	v_add_f32_e32 v1, v2, v30
	v_add_f32_e32 v1, v1, v3
	;; [unrolled: 1-line block ×5, first 2 shown]
	v_fma_f32 v1, -0.5, v1, v2
	v_add_f32_e32 v14, v14, v29
	v_sub_f32_e32 v27, v38, v39
	v_mov_b32_e32 v20, v1
	v_add_f32_e32 v14, v14, v31
	v_fmac_f32_e32 v20, 0xbf737871, v27
	v_sub_f32_e32 v29, v29, v31
	v_sub_f32_e32 v28, v30, v3
	v_sub_f32_e32 v31, v35, v32
	v_fmac_f32_e32 v1, 0x3f737871, v27
	v_fmac_f32_e32 v20, 0xbf167918, v29
	v_add_f32_e32 v28, v28, v31
	v_fmac_f32_e32 v1, 0x3f167918, v29
	v_fmac_f32_e32 v20, 0x3e9e377a, v28
	;; [unrolled: 1-line block ×3, first 2 shown]
	v_add_f32_e32 v28, v30, v35
	v_fmac_f32_e32 v2, -0.5, v28
	v_mov_b32_e32 v28, v2
	v_fmac_f32_e32 v28, 0x3f737871, v29
	v_sub_f32_e32 v3, v3, v30
	v_sub_f32_e32 v30, v32, v35
	v_fmac_f32_e32 v2, 0xbf737871, v29
	v_fmac_f32_e32 v28, 0xbf167918, v27
	v_add_f32_e32 v3, v3, v30
	v_fmac_f32_e32 v2, 0x3f167918, v27
	v_fmac_f32_e32 v28, 0x3e9e377a, v3
	;; [unrolled: 1-line block ×3, first 2 shown]
	v_mul_lo_u32 v3, v19, v23
	v_mov_b32_e32 v27, 3
	v_add_f32_e32 v4, v4, v33
	v_add_f32_e32 v4, v4, v37
	v_lshlrev_b32_sdwa v29, v27, v3 dst_sel:DWORD dst_unused:UNUSED_PAD src0_sel:DWORD src1_sel:BYTE_0
	v_lshlrev_b32_sdwa v3, v27, v3 dst_sel:DWORD dst_unused:UNUSED_PAD src0_sel:DWORD src1_sel:BYTE_1
	global_load_dwordx2 v[29:30], v29, s[2:3]
	v_add_f32_e32 v14, v14, v39
	global_load_dwordx2 v[31:32], v3, s[2:3] offset:2048
	s_waitcnt vmcnt(0)
	v_mul_f32_e32 v3, v30, v32
	v_fma_f32 v33, v29, v31, -v3
	v_mul_f32_e32 v29, v29, v32
	v_fmac_f32_e32 v29, v30, v31
	v_mul_f32_e32 v3, v5, v29
	v_fma_f32 v3, v4, v33, -v3
	v_mul_f32_e32 v4, v4, v29
	v_fmac_f32_e32 v4, v5, v33
	v_add_u32_e32 v5, 40, v23
	v_mul_lo_u32 v5, v19, v5
	v_lshlrev_b32_sdwa v29, v27, v5 dst_sel:DWORD dst_unused:UNUSED_PAD src0_sel:DWORD src1_sel:BYTE_0
	v_lshlrev_b32_sdwa v5, v27, v5 dst_sel:DWORD dst_unused:UNUSED_PAD src0_sel:DWORD src1_sel:BYTE_1
	global_load_dwordx2 v[29:30], v29, s[2:3]
	s_nop 0
	global_load_dwordx2 v[31:32], v5, s[2:3] offset:2048
	s_waitcnt vmcnt(0)
	v_mul_f32_e32 v5, v30, v32
	v_fma_f32 v33, v29, v31, -v5
	v_mul_f32_e32 v29, v29, v32
	v_fmac_f32_e32 v29, v30, v31
	v_mul_f32_e32 v5, v7, v29
	v_fma_f32 v5, v6, v33, -v5
	v_mul_f32_e32 v6, v6, v29
	v_fmac_f32_e32 v6, v7, v33
	v_add_u32_e32 v7, 0x50, v23
	v_mul_lo_u32 v7, v19, v7
	v_lshlrev_b32_sdwa v29, v27, v7 dst_sel:DWORD dst_unused:UNUSED_PAD src0_sel:DWORD src1_sel:BYTE_0
	v_lshlrev_b32_sdwa v7, v27, v7 dst_sel:DWORD dst_unused:UNUSED_PAD src0_sel:DWORD src1_sel:BYTE_1
	global_load_dwordx2 v[29:30], v29, s[2:3]
	s_nop 0
	;; [unrolled: 16-line block ×4, first 2 shown]
	global_load_dwordx2 v[31:32], v11, s[2:3] offset:2048
	s_waitcnt vmcnt(0)
	v_mul_f32_e32 v11, v30, v32
	v_fma_f32 v33, v29, v31, -v11
	v_mul_f32_e32 v29, v29, v32
	v_fmac_f32_e32 v29, v30, v31
	v_mul_f32_e32 v11, v13, v29
	v_fma_f32 v11, v12, v33, -v11
	v_mul_f32_e32 v12, v12, v29
	v_fmac_f32_e32 v12, v13, v33
	v_mul_lo_u32 v13, v19, v24
	v_lshlrev_b32_sdwa v29, v27, v13 dst_sel:DWORD dst_unused:UNUSED_PAD src0_sel:DWORD src1_sel:BYTE_0
	v_lshlrev_b32_sdwa v13, v27, v13 dst_sel:DWORD dst_unused:UNUSED_PAD src0_sel:DWORD src1_sel:BYTE_1
	global_load_dwordx2 v[29:30], v29, s[2:3]
	s_nop 0
	global_load_dwordx2 v[31:32], v13, s[2:3] offset:2048
	s_waitcnt vmcnt(0)
	v_mul_f32_e32 v13, v30, v32
	v_fma_f32 v33, v29, v31, -v13
	v_mul_f32_e32 v29, v29, v32
	v_fmac_f32_e32 v29, v30, v31
	v_mul_f32_e32 v13, v15, v29
	v_fma_f32 v13, v14, v33, -v13
	v_mul_f32_e32 v14, v14, v29
	v_fmac_f32_e32 v14, v15, v33
	v_add_u32_e32 v15, 40, v24
	v_mul_lo_u32 v15, v19, v15
	v_lshlrev_b32_sdwa v29, v27, v15 dst_sel:DWORD dst_unused:UNUSED_PAD src0_sel:DWORD src1_sel:BYTE_0
	v_lshlrev_b32_sdwa v15, v27, v15 dst_sel:DWORD dst_unused:UNUSED_PAD src0_sel:DWORD src1_sel:BYTE_1
	global_load_dwordx2 v[29:30], v29, s[2:3]
	s_nop 0
	global_load_dwordx2 v[31:32], v15, s[2:3] offset:2048
	s_waitcnt vmcnt(0)
	v_mul_f32_e32 v15, v30, v32
	v_fma_f32 v33, v29, v31, -v15
	v_mul_f32_e32 v29, v29, v32
	v_fmac_f32_e32 v29, v30, v31
	v_mul_f32_e32 v15, v20, v29
	v_fma_f32 v15, v16, v33, -v15
	v_mul_f32_e32 v16, v16, v29
	v_fmac_f32_e32 v16, v20, v33
	v_add_u32_e32 v20, 0x50, v24
	;; [unrolled: 16-line block ×3, first 2 shown]
	v_mul_lo_u32 v30, v19, v28
	v_lshlrev_b32_sdwa v28, v27, v30 dst_sel:DWORD dst_unused:UNUSED_PAD src0_sel:DWORD src1_sel:BYTE_0
	v_lshlrev_b32_sdwa v30, v27, v30 dst_sel:DWORD dst_unused:UNUSED_PAD src0_sel:DWORD src1_sel:BYTE_1
	global_load_dwordx2 v[28:29], v28, s[2:3]
	s_nop 0
	global_load_dwordx2 v[30:31], v30, s[2:3] offset:2048
	s_waitcnt vmcnt(0)
	v_mul_f32_e32 v32, v29, v31
	v_mul_f32_e32 v31, v28, v31
	v_fmac_f32_e32 v31, v29, v30
	v_fma_f32 v32, v28, v30, -v32
	v_mul_f32_e32 v29, v26, v31
	v_mul_f32_e32 v28, v2, v31
	v_fmac_f32_e32 v29, v2, v32
	v_add_u32_e32 v2, 0xa0, v24
	v_mul_lo_u32 v2, v19, v2
	v_fma_f32 v28, v26, v32, -v28
	v_lshlrev_b32_sdwa v19, v27, v2 dst_sel:DWORD dst_unused:UNUSED_PAD src0_sel:DWORD src1_sel:BYTE_0
	v_lshlrev_b32_sdwa v2, v27, v2 dst_sel:DWORD dst_unused:UNUSED_PAD src0_sel:DWORD src1_sel:BYTE_1
	global_load_dwordx2 v[30:31], v19, s[2:3]
	global_load_dwordx2 v[26:27], v2, s[2:3] offset:2048
	s_waitcnt vmcnt(0)
	v_mul_f32_e32 v19, v30, v27
	v_mul_f32_e32 v2, v31, v27
	v_fmac_f32_e32 v19, v31, v26
	v_fma_f32 v2, v30, v26, -v2
	v_mul_f32_e32 v24, v1, v19
	v_fma_f32 v24, v25, v2, -v24
	v_mul_f32_e32 v25, v25, v19
	v_fmac_f32_e32 v25, v1, v2
	v_mul_lo_u32 v1, s12, v0
	v_add_lshl_u32 v1, v17, v1, 3
	v_cndmask_b32_e32 v1, -1, v1, vcc
	buffer_store_dwordx2 v[3:4], v1, s[8:11], s6 offen
	v_add_u32_e32 v1, 40, v0
	v_mul_lo_u32 v1, s12, v1
	v_add_lshl_u32 v1, v17, v1, 3
	v_cndmask_b32_e32 v1, -1, v1, vcc
	buffer_store_dwordx2 v[5:6], v1, s[8:11], s6 offen
	v_add_u32_e32 v1, 0x50, v0
	;; [unrolled: 5-line block ×3, first 2 shown]
	v_add_u32_e32 v0, 0xa0, v0
	v_mul_lo_u32 v1, s12, v1
	v_mul_lo_u32 v0, s12, v0
	v_add_lshl_u32 v1, v17, v1, 3
	v_add_lshl_u32 v0, v17, v0, 3
	v_cndmask_b32_e32 v1, -1, v1, vcc
	v_cndmask_b32_e32 v0, -1, v0, vcc
	buffer_store_dwordx2 v[9:10], v1, s[8:11], s6 offen
	buffer_store_dwordx2 v[11:12], v0, s[8:11], s6 offen
	v_mad_u32_u24 v0, v22, s4, v18
	v_mul_lo_u32 v1, s12, v0
	v_add_lshl_u32 v1, v17, v1, 3
	v_cndmask_b32_e32 v1, -1, v1, vcc
	buffer_store_dwordx2 v[13:14], v1, s[8:11], s6 offen
	v_add_u32_e32 v1, 40, v0
	v_mul_lo_u32 v1, s12, v1
	v_add_lshl_u32 v1, v17, v1, 3
	v_cndmask_b32_e32 v1, -1, v1, vcc
	buffer_store_dwordx2 v[15:16], v1, s[8:11], s6 offen
	v_add_u32_e32 v1, 0x50, v0
	;; [unrolled: 5-line block ×3, first 2 shown]
	v_add_u32_e32 v0, 0xa0, v0
	v_mul_lo_u32 v1, s12, v1
	v_mul_lo_u32 v0, s12, v0
	v_add_lshl_u32 v1, v17, v1, 3
	v_add_lshl_u32 v0, v17, v0, 3
	v_cndmask_b32_e32 v1, -1, v1, vcc
	v_cndmask_b32_e32 v0, -1, v0, vcc
	buffer_store_dwordx2 v[28:29], v1, s[8:11], s6 offen
	buffer_store_dwordx2 v[24:25], v0, s[8:11], s6 offen
	s_endpgm
	.section	.rodata,"a",@progbits
	.p2align	6, 0x0
	.amdhsa_kernel fft_rtc_fwd_len200_factors_2_4_5_5_wgs_320_tpt_20_dim3_sp_ip_CI_sbcc_twdbase8_2step_dirReg_intrinsicReadWrite
		.amdhsa_group_segment_fixed_size 0
		.amdhsa_private_segment_fixed_size 0
		.amdhsa_kernarg_size 88
		.amdhsa_user_sgpr_count 6
		.amdhsa_user_sgpr_private_segment_buffer 1
		.amdhsa_user_sgpr_dispatch_ptr 0
		.amdhsa_user_sgpr_queue_ptr 0
		.amdhsa_user_sgpr_kernarg_segment_ptr 1
		.amdhsa_user_sgpr_dispatch_id 0
		.amdhsa_user_sgpr_flat_scratch_init 0
		.amdhsa_user_sgpr_private_segment_size 0
		.amdhsa_uses_dynamic_stack 0
		.amdhsa_system_sgpr_private_segment_wavefront_offset 0
		.amdhsa_system_sgpr_workgroup_id_x 1
		.amdhsa_system_sgpr_workgroup_id_y 0
		.amdhsa_system_sgpr_workgroup_id_z 0
		.amdhsa_system_sgpr_workgroup_info 0
		.amdhsa_system_vgpr_workitem_id 0
		.amdhsa_next_free_vgpr 50
		.amdhsa_next_free_sgpr 28
		.amdhsa_reserve_vcc 1
		.amdhsa_reserve_flat_scratch 0
		.amdhsa_float_round_mode_32 0
		.amdhsa_float_round_mode_16_64 0
		.amdhsa_float_denorm_mode_32 3
		.amdhsa_float_denorm_mode_16_64 3
		.amdhsa_dx10_clamp 1
		.amdhsa_ieee_mode 1
		.amdhsa_fp16_overflow 0
		.amdhsa_exception_fp_ieee_invalid_op 0
		.amdhsa_exception_fp_denorm_src 0
		.amdhsa_exception_fp_ieee_div_zero 0
		.amdhsa_exception_fp_ieee_overflow 0
		.amdhsa_exception_fp_ieee_underflow 0
		.amdhsa_exception_fp_ieee_inexact 0
		.amdhsa_exception_int_div_zero 0
	.end_amdhsa_kernel
	.text
.Lfunc_end0:
	.size	fft_rtc_fwd_len200_factors_2_4_5_5_wgs_320_tpt_20_dim3_sp_ip_CI_sbcc_twdbase8_2step_dirReg_intrinsicReadWrite, .Lfunc_end0-fft_rtc_fwd_len200_factors_2_4_5_5_wgs_320_tpt_20_dim3_sp_ip_CI_sbcc_twdbase8_2step_dirReg_intrinsicReadWrite
                                        ; -- End function
	.section	.AMDGPU.csdata,"",@progbits
; Kernel info:
; codeLenInByte = 5428
; NumSgprs: 32
; NumVgprs: 50
; ScratchSize: 0
; MemoryBound: 0
; FloatMode: 240
; IeeeMode: 1
; LDSByteSize: 0 bytes/workgroup (compile time only)
; SGPRBlocks: 3
; VGPRBlocks: 12
; NumSGPRsForWavesPerEU: 32
; NumVGPRsForWavesPerEU: 50
; Occupancy: 4
; WaveLimiterHint : 0
; COMPUTE_PGM_RSRC2:SCRATCH_EN: 0
; COMPUTE_PGM_RSRC2:USER_SGPR: 6
; COMPUTE_PGM_RSRC2:TRAP_HANDLER: 0
; COMPUTE_PGM_RSRC2:TGID_X_EN: 1
; COMPUTE_PGM_RSRC2:TGID_Y_EN: 0
; COMPUTE_PGM_RSRC2:TGID_Z_EN: 0
; COMPUTE_PGM_RSRC2:TIDIG_COMP_CNT: 0
	.type	__hip_cuid_f4faeace82c7505b,@object ; @__hip_cuid_f4faeace82c7505b
	.section	.bss,"aw",@nobits
	.globl	__hip_cuid_f4faeace82c7505b
__hip_cuid_f4faeace82c7505b:
	.byte	0                               ; 0x0
	.size	__hip_cuid_f4faeace82c7505b, 1

	.ident	"AMD clang version 19.0.0git (https://github.com/RadeonOpenCompute/llvm-project roc-6.4.0 25133 c7fe45cf4b819c5991fe208aaa96edf142730f1d)"
	.section	".note.GNU-stack","",@progbits
	.addrsig
	.addrsig_sym __hip_cuid_f4faeace82c7505b
	.amdgpu_metadata
---
amdhsa.kernels:
  - .args:
      - .actual_access:  read_only
        .address_space:  global
        .offset:         0
        .size:           8
        .value_kind:     global_buffer
      - .address_space:  global
        .offset:         8
        .size:           8
        .value_kind:     global_buffer
      - .actual_access:  read_only
        .address_space:  global
        .offset:         16
        .size:           8
        .value_kind:     global_buffer
      - .actual_access:  read_only
        .address_space:  global
        .offset:         24
        .size:           8
        .value_kind:     global_buffer
      - .offset:         32
        .size:           8
        .value_kind:     by_value
      - .actual_access:  read_only
        .address_space:  global
        .offset:         40
        .size:           8
        .value_kind:     global_buffer
      - .actual_access:  read_only
        .address_space:  global
        .offset:         48
        .size:           8
        .value_kind:     global_buffer
      - .offset:         56
        .size:           4
        .value_kind:     by_value
      - .actual_access:  read_only
        .address_space:  global
        .offset:         64
        .size:           8
        .value_kind:     global_buffer
      - .actual_access:  read_only
        .address_space:  global
        .offset:         72
        .size:           8
        .value_kind:     global_buffer
      - .address_space:  global
        .offset:         80
        .size:           8
        .value_kind:     global_buffer
    .group_segment_fixed_size: 0
    .kernarg_segment_align: 8
    .kernarg_segment_size: 88
    .language:       OpenCL C
    .language_version:
      - 2
      - 0
    .max_flat_workgroup_size: 320
    .name:           fft_rtc_fwd_len200_factors_2_4_5_5_wgs_320_tpt_20_dim3_sp_ip_CI_sbcc_twdbase8_2step_dirReg_intrinsicReadWrite
    .private_segment_fixed_size: 0
    .sgpr_count:     32
    .sgpr_spill_count: 0
    .symbol:         fft_rtc_fwd_len200_factors_2_4_5_5_wgs_320_tpt_20_dim3_sp_ip_CI_sbcc_twdbase8_2step_dirReg_intrinsicReadWrite.kd
    .uniform_work_group_size: 1
    .uses_dynamic_stack: false
    .vgpr_count:     50
    .vgpr_spill_count: 0
    .wavefront_size: 64
amdhsa.target:   amdgcn-amd-amdhsa--gfx906
amdhsa.version:
  - 1
  - 2
...

	.end_amdgpu_metadata
